;; amdgpu-corpus repo=ROCm/rocFFT kind=compiled arch=gfx906 opt=O3
	.text
	.amdgcn_target "amdgcn-amd-amdhsa--gfx906"
	.amdhsa_code_object_version 6
	.protected	fft_rtc_back_len105_factors_7_3_5_wgs_252_tpt_21_half_ip_CI_sbrr_dirReg ; -- Begin function fft_rtc_back_len105_factors_7_3_5_wgs_252_tpt_21_half_ip_CI_sbrr_dirReg
	.globl	fft_rtc_back_len105_factors_7_3_5_wgs_252_tpt_21_half_ip_CI_sbrr_dirReg
	.p2align	8
	.type	fft_rtc_back_len105_factors_7_3_5_wgs_252_tpt_21_half_ip_CI_sbrr_dirReg,@function
fft_rtc_back_len105_factors_7_3_5_wgs_252_tpt_21_half_ip_CI_sbrr_dirReg: ; @fft_rtc_back_len105_factors_7_3_5_wgs_252_tpt_21_half_ip_CI_sbrr_dirReg
; %bb.0:
	s_load_dwordx2 s[14:15], s[4:5], 0x18
	s_load_dwordx4 s[8:11], s[4:5], 0x0
	s_load_dwordx2 s[12:13], s[4:5], 0x50
	v_mul_u32_u24_e32 v1, 0xc31, v0
	v_lshrrev_b32_e32 v1, 16, v1
	s_waitcnt lgkmcnt(0)
	s_load_dwordx2 s[2:3], s[14:15], 0x0
	v_mad_u64_u32 v[3:4], s[0:1], s6, 12, v[1:2]
	v_mov_b32_e32 v5, 0
	v_cmp_lt_u64_e64 s[0:1], s[10:11], 2
	v_mov_b32_e32 v4, v5
	v_mov_b32_e32 v1, 0
	;; [unrolled: 1-line block ×3, first 2 shown]
	s_and_b64 vcc, exec, s[0:1]
	v_mov_b32_e32 v2, 0
	v_mov_b32_e32 v9, v3
	s_cbranch_vccnz .LBB0_8
; %bb.1:
	s_load_dwordx2 s[0:1], s[4:5], 0x10
	s_add_u32 s6, s14, 8
	s_addc_u32 s7, s15, 0
	v_mov_b32_e32 v1, 0
	v_mov_b32_e32 v8, v4
	s_waitcnt lgkmcnt(0)
	s_add_u32 s18, s0, 8
	s_mov_b64 s[16:17], 1
	v_mov_b32_e32 v2, 0
	s_addc_u32 s19, s1, 0
	v_mov_b32_e32 v7, v3
.LBB0_2:                                ; =>This Inner Loop Header: Depth=1
	s_load_dwordx2 s[20:21], s[18:19], 0x0
                                        ; implicit-def: $vgpr9_vgpr10
	s_waitcnt lgkmcnt(0)
	v_or_b32_e32 v6, s21, v8
	v_cmp_ne_u64_e32 vcc, 0, v[5:6]
	s_and_saveexec_b64 s[0:1], vcc
	s_xor_b64 s[22:23], exec, s[0:1]
	s_cbranch_execz .LBB0_4
; %bb.3:                                ;   in Loop: Header=BB0_2 Depth=1
	v_cvt_f32_u32_e32 v4, s20
	v_cvt_f32_u32_e32 v6, s21
	s_sub_u32 s0, 0, s20
	s_subb_u32 s1, 0, s21
	v_mac_f32_e32 v4, 0x4f800000, v6
	v_rcp_f32_e32 v4, v4
	v_mul_f32_e32 v4, 0x5f7ffffc, v4
	v_mul_f32_e32 v6, 0x2f800000, v4
	v_trunc_f32_e32 v6, v6
	v_mac_f32_e32 v4, 0xcf800000, v6
	v_cvt_u32_f32_e32 v6, v6
	v_cvt_u32_f32_e32 v4, v4
	v_mul_lo_u32 v9, s0, v6
	v_mul_hi_u32 v10, s0, v4
	v_mul_lo_u32 v12, s1, v4
	v_mul_lo_u32 v11, s0, v4
	v_add_u32_e32 v9, v10, v9
	v_add_u32_e32 v9, v9, v12
	v_mul_hi_u32 v10, v4, v11
	v_mul_lo_u32 v12, v4, v9
	v_mul_hi_u32 v14, v4, v9
	v_mul_hi_u32 v13, v6, v11
	v_mul_lo_u32 v11, v6, v11
	v_mul_hi_u32 v15, v6, v9
	v_add_co_u32_e32 v10, vcc, v10, v12
	v_addc_co_u32_e32 v12, vcc, 0, v14, vcc
	v_mul_lo_u32 v9, v6, v9
	v_add_co_u32_e32 v10, vcc, v10, v11
	v_addc_co_u32_e32 v10, vcc, v12, v13, vcc
	v_addc_co_u32_e32 v11, vcc, 0, v15, vcc
	v_add_co_u32_e32 v9, vcc, v10, v9
	v_addc_co_u32_e32 v10, vcc, 0, v11, vcc
	v_add_co_u32_e32 v4, vcc, v4, v9
	v_addc_co_u32_e32 v6, vcc, v6, v10, vcc
	v_mul_lo_u32 v9, s0, v6
	v_mul_hi_u32 v10, s0, v4
	v_mul_lo_u32 v11, s1, v4
	v_mul_lo_u32 v12, s0, v4
	v_add_u32_e32 v9, v10, v9
	v_add_u32_e32 v9, v9, v11
	v_mul_lo_u32 v13, v4, v9
	v_mul_hi_u32 v14, v4, v12
	v_mul_hi_u32 v15, v4, v9
	;; [unrolled: 1-line block ×3, first 2 shown]
	v_mul_lo_u32 v12, v6, v12
	v_mul_hi_u32 v10, v6, v9
	v_add_co_u32_e32 v13, vcc, v14, v13
	v_addc_co_u32_e32 v14, vcc, 0, v15, vcc
	v_mul_lo_u32 v9, v6, v9
	v_add_co_u32_e32 v12, vcc, v13, v12
	v_addc_co_u32_e32 v11, vcc, v14, v11, vcc
	v_addc_co_u32_e32 v10, vcc, 0, v10, vcc
	v_add_co_u32_e32 v9, vcc, v11, v9
	v_addc_co_u32_e32 v10, vcc, 0, v10, vcc
	v_add_co_u32_e32 v4, vcc, v4, v9
	v_addc_co_u32_e32 v6, vcc, v6, v10, vcc
	v_mad_u64_u32 v[9:10], s[0:1], v7, v6, 0
	v_mul_hi_u32 v11, v7, v4
	v_add_co_u32_e32 v13, vcc, v11, v9
	v_addc_co_u32_e32 v14, vcc, 0, v10, vcc
	v_mad_u64_u32 v[9:10], s[0:1], v8, v4, 0
	v_mad_u64_u32 v[11:12], s[0:1], v8, v6, 0
	v_add_co_u32_e32 v4, vcc, v13, v9
	v_addc_co_u32_e32 v4, vcc, v14, v10, vcc
	v_addc_co_u32_e32 v6, vcc, 0, v12, vcc
	v_add_co_u32_e32 v4, vcc, v4, v11
	v_addc_co_u32_e32 v6, vcc, 0, v6, vcc
	v_mul_lo_u32 v11, s21, v4
	v_mul_lo_u32 v12, s20, v6
	v_mad_u64_u32 v[9:10], s[0:1], s20, v4, 0
	v_add3_u32 v10, v10, v12, v11
	v_sub_u32_e32 v11, v8, v10
	v_mov_b32_e32 v12, s21
	v_sub_co_u32_e32 v9, vcc, v7, v9
	v_subb_co_u32_e64 v11, s[0:1], v11, v12, vcc
	v_subrev_co_u32_e64 v12, s[0:1], s20, v9
	v_subbrev_co_u32_e64 v11, s[0:1], 0, v11, s[0:1]
	v_cmp_le_u32_e64 s[0:1], s21, v11
	v_cndmask_b32_e64 v13, 0, -1, s[0:1]
	v_cmp_le_u32_e64 s[0:1], s20, v12
	v_cndmask_b32_e64 v12, 0, -1, s[0:1]
	v_cmp_eq_u32_e64 s[0:1], s21, v11
	v_cndmask_b32_e64 v11, v13, v12, s[0:1]
	v_add_co_u32_e64 v12, s[0:1], 2, v4
	v_addc_co_u32_e64 v13, s[0:1], 0, v6, s[0:1]
	v_add_co_u32_e64 v14, s[0:1], 1, v4
	v_addc_co_u32_e64 v15, s[0:1], 0, v6, s[0:1]
	v_subb_co_u32_e32 v10, vcc, v8, v10, vcc
	v_cmp_ne_u32_e64 s[0:1], 0, v11
	v_cmp_le_u32_e32 vcc, s21, v10
	v_cndmask_b32_e64 v11, v15, v13, s[0:1]
	v_cndmask_b32_e64 v13, 0, -1, vcc
	v_cmp_le_u32_e32 vcc, s20, v9
	v_cndmask_b32_e64 v9, 0, -1, vcc
	v_cmp_eq_u32_e32 vcc, s21, v10
	v_cndmask_b32_e32 v9, v13, v9, vcc
	v_cmp_ne_u32_e32 vcc, 0, v9
	v_cndmask_b32_e32 v10, v6, v11, vcc
	v_cndmask_b32_e64 v6, v14, v12, s[0:1]
	v_cndmask_b32_e32 v9, v4, v6, vcc
.LBB0_4:                                ;   in Loop: Header=BB0_2 Depth=1
	s_andn2_saveexec_b64 s[0:1], s[22:23]
	s_cbranch_execz .LBB0_6
; %bb.5:                                ;   in Loop: Header=BB0_2 Depth=1
	v_cvt_f32_u32_e32 v4, s20
	s_sub_i32 s22, 0, s20
	v_rcp_iflag_f32_e32 v4, v4
	v_mul_f32_e32 v4, 0x4f7ffffe, v4
	v_cvt_u32_f32_e32 v4, v4
	v_mul_lo_u32 v6, s22, v4
	v_mul_hi_u32 v6, v4, v6
	v_add_u32_e32 v4, v4, v6
	v_mul_hi_u32 v4, v7, v4
	v_mul_lo_u32 v6, v4, s20
	v_add_u32_e32 v9, 1, v4
	v_sub_u32_e32 v6, v7, v6
	v_subrev_u32_e32 v10, s20, v6
	v_cmp_le_u32_e32 vcc, s20, v6
	v_cndmask_b32_e32 v6, v6, v10, vcc
	v_cndmask_b32_e32 v4, v4, v9, vcc
	v_add_u32_e32 v9, 1, v4
	v_cmp_le_u32_e32 vcc, s20, v6
	v_cndmask_b32_e32 v9, v4, v9, vcc
	v_mov_b32_e32 v10, v5
.LBB0_6:                                ;   in Loop: Header=BB0_2 Depth=1
	s_or_b64 exec, exec, s[0:1]
	v_mul_lo_u32 v4, v10, s20
	v_mul_lo_u32 v6, v9, s21
	v_mad_u64_u32 v[11:12], s[0:1], v9, s20, 0
	s_load_dwordx2 s[0:1], s[6:7], 0x0
	s_add_u32 s16, s16, 1
	v_add3_u32 v4, v12, v6, v4
	v_sub_co_u32_e32 v6, vcc, v7, v11
	v_subb_co_u32_e32 v4, vcc, v8, v4, vcc
	s_waitcnt lgkmcnt(0)
	v_mul_lo_u32 v4, s0, v4
	v_mul_lo_u32 v7, s1, v6
	v_mad_u64_u32 v[1:2], s[0:1], s0, v6, v[1:2]
	s_addc_u32 s17, s17, 0
	s_add_u32 s6, s6, 8
	v_add3_u32 v2, v7, v2, v4
	v_mov_b32_e32 v6, s10
	v_mov_b32_e32 v7, s11
	s_addc_u32 s7, s7, 0
	v_cmp_ge_u64_e32 vcc, s[16:17], v[6:7]
	s_add_u32 s18, s18, 8
	s_addc_u32 s19, s19, 0
	s_cbranch_vccnz .LBB0_8
; %bb.7:                                ;   in Loop: Header=BB0_2 Depth=1
	v_mov_b32_e32 v7, v9
	v_mov_b32_e32 v8, v10
	s_branch .LBB0_2
.LBB0_8:
	s_lshl_b64 s[0:1], s[10:11], 3
	s_add_u32 s0, s14, s0
	s_addc_u32 s1, s15, s1
	s_load_dwordx2 s[6:7], s[0:1], 0x0
	s_load_dwordx2 s[10:11], s[4:5], 0x20
	v_mov_b32_e32 v7, 0
                                        ; implicit-def: $vgpr11
	s_waitcnt lgkmcnt(0)
	v_mad_u64_u32 v[1:2], s[0:1], s6, v9, v[1:2]
	s_mov_b32 s0, 0xc30c30d
	v_mul_lo_u32 v4, s6, v10
	v_mul_lo_u32 v5, s7, v9
	v_mul_hi_u32 v6, v0, s0
	v_cmp_gt_u64_e32 vcc, s[10:11], v[9:10]
	v_mov_b32_e32 v10, 0
	v_add3_u32 v2, v5, v2, v4
	v_mul_u32_u24_e32 v4, 21, v6
	v_sub_u32_e32 v8, v0, v4
	v_mov_b32_e32 v0, 0
	v_mov_b32_e32 v5, 0
	;; [unrolled: 1-line block ×3, first 2 shown]
                                        ; implicit-def: $vgpr9
                                        ; implicit-def: $vgpr6
	s_and_saveexec_b64 s[4:5], vcc
	s_cbranch_execz .LBB0_12
; %bb.9:
	v_cmp_gt_u32_e64 s[0:1], 15, v8
	v_mov_b32_e32 v4, 0
	v_mov_b32_e32 v7, 0
	;; [unrolled: 1-line block ×4, first 2 shown]
                                        ; implicit-def: $vgpr6
                                        ; implicit-def: $vgpr11
                                        ; implicit-def: $vgpr9
	s_and_saveexec_b64 s[6:7], s[0:1]
	s_cbranch_execz .LBB0_11
; %bb.10:
	v_mad_u64_u32 v[4:5], s[0:1], s2, v8, 0
	v_add_u32_e32 v11, 15, v8
	v_mad_u64_u32 v[9:10], s[0:1], s2, v11, 0
	v_mov_b32_e32 v0, v5
	v_mad_u64_u32 v[5:6], s[0:1], s3, v8, v[0:1]
	v_lshlrev_b64 v[6:7], 2, v[1:2]
	v_mov_b32_e32 v0, s13
	v_add_co_u32_e64 v25, s[0:1], s12, v6
	v_addc_co_u32_e64 v26, s[0:1], v0, v7, s[0:1]
	v_mov_b32_e32 v0, v10
	v_mad_u64_u32 v[6:7], s[0:1], s3, v11, v[0:1]
	v_add_u32_e32 v7, 30, v8
	v_mad_u64_u32 v[11:12], s[0:1], s2, v7, 0
	v_lshlrev_b64 v[4:5], 2, v[4:5]
	v_mov_b32_e32 v10, v6
	v_add_co_u32_e64 v13, s[0:1], v25, v4
	v_mov_b32_e32 v0, v12
	v_addc_co_u32_e64 v14, s[0:1], v26, v5, s[0:1]
	v_mad_u64_u32 v[6:7], s[0:1], s3, v7, v[0:1]
	v_add_u32_e32 v7, 45, v8
	v_lshlrev_b64 v[4:5], 2, v[9:10]
	v_mad_u64_u32 v[9:10], s[0:1], s2, v7, 0
	v_add_co_u32_e64 v15, s[0:1], v25, v4
	v_mov_b32_e32 v0, v10
	v_addc_co_u32_e64 v16, s[0:1], v26, v5, s[0:1]
	v_mov_b32_e32 v12, v6
	v_mad_u64_u32 v[6:7], s[0:1], s3, v7, v[0:1]
	v_add_u32_e32 v7, 60, v8
	v_lshlrev_b64 v[4:5], 2, v[11:12]
	v_mad_u64_u32 v[11:12], s[0:1], s2, v7, 0
	v_add_co_u32_e64 v17, s[0:1], v25, v4
	v_mov_b32_e32 v0, v12
	v_addc_co_u32_e64 v18, s[0:1], v26, v5, s[0:1]
	v_mov_b32_e32 v10, v6
	;; [unrolled: 8-line block ×4, first 2 shown]
	v_mad_u64_u32 v[6:7], s[0:1], s3, v7, v[0:1]
	v_lshlrev_b64 v[4:5], 2, v[9:10]
	v_add_co_u32_e64 v23, s[0:1], v25, v4
	v_mov_b32_e32 v12, v6
	v_addc_co_u32_e64 v24, s[0:1], v26, v5, s[0:1]
	v_lshlrev_b64 v[4:5], 2, v[11:12]
	v_add_co_u32_e64 v25, s[0:1], v25, v4
	v_addc_co_u32_e64 v26, s[0:1], v26, v5, s[0:1]
	global_load_dword v4, v[13:14], off
	global_load_dword v10, v[15:16], off
	;; [unrolled: 1-line block ×7, first 2 shown]
.LBB0_11:
	s_or_b64 exec, exec, s[6:7]
	v_mov_b32_e32 v0, v8
.LBB0_12:
	s_or_b64 exec, exec, s[4:5]
	s_mov_b32 s0, 0xaaaaaaab
	v_mul_hi_u32 v12, v3, s0
	s_waitcnt vmcnt(0)
	v_pk_add_f16 v13, v10, v11
	v_pk_add_f16 v14, v7, v6
	v_pk_add_f16 v10, v10, v11 neg_lo:[0,1] neg_hi:[0,1]
	v_lshrrev_b32_e32 v12, 3, v12
	v_mul_lo_u32 v12, v12, 12
	v_pk_add_f16 v11, v5, v9
	s_movk_i32 s0, 0x3a52
	v_pk_add_f16 v9, v5, v9 neg_lo:[0,1] neg_hi:[0,1]
	v_sub_u32_e32 v3, v3, v12
	v_mul_u32_u24_e32 v19, 0x69, v3
	v_pk_add_f16 v3, v13, v14 neg_lo:[0,1] neg_hi:[0,1]
	v_pk_mul_f16 v5, v3, s0 op_sel_hi:[1,0]
	v_pk_add_f16 v3, v11, v13
	v_pk_add_f16 v6, v7, v6 neg_lo:[0,1] neg_hi:[0,1]
	v_pk_add_f16 v12, v11, v13 neg_lo:[0,1] neg_hi:[0,1]
	;; [unrolled: 1-line block ×3, first 2 shown]
	v_pk_add_f16 v3, v3, v14
	s_movk_i32 s0, 0x2b26
	v_pk_add_f16 v7, v10, v6 op_sel:[1,1] op_sel_hi:[0,0] neg_lo:[0,1] neg_hi:[0,1]
	v_pk_add_f16 v13, v9, v6 op_sel:[1,1] op_sel_hi:[0,0]
	v_pk_add_f16 v15, v6, v9 op_sel:[1,1] op_sel_hi:[0,0] neg_lo:[0,1] neg_hi:[0,1]
	v_pk_add_f16 v16, v9, v10 op_sel:[1,1] op_sel_hi:[0,0] neg_lo:[0,1] neg_hi:[0,1]
	v_pk_add_f16 v6, v4, v3
	v_pk_mul_f16 v9, v11, s0 op_sel_hi:[1,0]
	s_movk_i32 s0, 0x3846
	s_mov_b32 s1, 0xbcab
	v_pk_add_f16 v14, v10, v13 op_sel:[1,0] op_sel_hi:[0,1]
	v_pk_mul_f16 v10, v15, s0 op_sel_hi:[1,0]
	s_mov_b32 s0, 0xbb00
	v_pk_fma_f16 v15, v3, s1, v6 op_sel_hi:[1,0,1]
	s_movk_i32 s1, 0x39e0
	s_mov_b32 s6, 0xb574
	v_pk_mul_f16 v4, v16, s0 op_sel_hi:[1,0]
	v_pk_fma_f16 v3, v12, s1, v9 op_sel_hi:[1,0,1] neg_lo:[0,0,1] neg_hi:[0,0,1]
	s_mov_b32 s7, 0xb70e
	v_pk_fma_f16 v11, v16, s0, v10 op_sel_hi:[1,0,1] neg_lo:[0,0,1] neg_hi:[0,0,1]
	v_pk_add_f16 v13, v3, v15
	v_pk_fma_f16 v3, v12, s1, v5 op_sel_hi:[1,0,1] neg_lo:[1,0,1] neg_hi:[1,0,1]
	v_pk_fma_f16 v4, v7, s6, v4 op_sel_hi:[1,0,1] neg_lo:[1,0,1] neg_hi:[1,0,1]
	v_pk_fma_f16 v11, v14, s7, v11 op_sel_hi:[1,0,1]
	v_pk_add_f16 v16, v3, v15
	v_pk_fma_f16 v17, v14, s7, v4 op_sel_hi:[1,0,1]
	v_pk_add_f16 v3, v13, v11 neg_lo:[0,1] neg_hi:[0,1]
	v_pk_add_f16 v4, v13, v11
	s_mov_b32 s10, 0xffff
	v_alignbit_b32 v12, v16, v13, 16
	v_alignbit_b32 v11, v17, v11, 16
	v_pk_add_f16 v18, v16, v17
	v_bfi_b32 v3, s10, v3, v4
	v_pk_add_f16 v12, v12, v11 neg_lo:[0,1] neg_hi:[0,1]
	v_lshrrev_b32_e32 v13, 16, v18
	v_cmp_gt_u32_e64 s[0:1], 15, v8
	v_lshlrev_b32_e32 v11, 2, v19
	s_and_saveexec_b64 s[4:5], s[0:1]
	s_cbranch_execz .LBB0_14
; %bb.13:
	v_pk_mul_f16 v7, v7, s6 op_sel_hi:[1,0]
	v_pk_mul_f16 v14, v14, s7 op_sel_hi:[1,0]
	v_pk_add_f16 v5, v5, v9
	v_pk_add_f16 v7, v7, v10
	;; [unrolled: 1-line block ×4, first 2 shown]
	v_pk_add_f16 v16, v16, v17 neg_lo:[0,1] neg_hi:[0,1]
	v_mul_u32_u24_e32 v17, 28, v8
	v_pk_add_f16 v9, v5, v7
	v_pk_add_f16 v5, v5, v7 neg_lo:[0,1] neg_hi:[0,1]
	v_bfi_b32 v16, s10, v18, v16
	v_add3_u32 v17, 0, v17, v11
	v_bfi_b32 v7, s10, v9, v5
	s_mov_b32 s0, 0x5040100
	ds_write2_b32 v17, v7, v16 offset0:1 offset1:2
	ds_write2_b32 v17, v6, v3 offset1:3
	v_perm_b32 v6, v12, v4, s0
	v_alignbit_b32 v7, v13, v12, 16
	v_bfi_b32 v5, s10, v5, v9
	ds_write2_b32 v17, v6, v7 offset0:4 offset1:5
	ds_write_b32 v17, v5 offset:24
.LBB0_14:
	s_or_b64 exec, exec, s[4:5]
	v_lshlrev_b32_e32 v5, 2, v8
	v_add3_u32 v9, 0, v11, v5
	v_add3_u32 v10, 0, v5, v11
	s_waitcnt lgkmcnt(0)
	s_barrier
	ds_read_b32 v15, v9
	ds_read2_b32 v[6:7], v10 offset0:35 offset1:70
	v_cmp_gt_u32_e64 s[0:1], 14, v8
	v_lshrrev_b32_e32 v14, 16, v12
	s_and_saveexec_b64 s[4:5], s[0:1]
	s_cbranch_execz .LBB0_16
; %bb.15:
	ds_read2_b32 v[3:4], v10 offset0:21 offset1:56
	ds_read_b32 v14, v10 offset:364
	s_waitcnt lgkmcnt(1)
	v_lshrrev_b32_e32 v12, 16, v4
	s_waitcnt lgkmcnt(0)
	v_lshrrev_b32_e32 v13, 16, v14
.LBB0_16:
	s_or_b64 exec, exec, s[4:5]
	v_mov_b32_e32 v16, 37
	v_mul_lo_u16_sdwa v17, v8, v16 dst_sel:DWORD dst_unused:UNUSED_PAD src0_sel:BYTE_0 src1_sel:DWORD
	v_sub_u16_sdwa v18, v8, v17 dst_sel:DWORD dst_unused:UNUSED_PAD src0_sel:DWORD src1_sel:BYTE_1
	v_lshrrev_b16_e32 v18, 1, v18
	v_and_b32_e32 v18, 0x7f, v18
	v_add_u16_sdwa v17, v18, v17 dst_sel:DWORD dst_unused:UNUSED_PAD src0_sel:DWORD src1_sel:BYTE_1
	v_lshrrev_b16_e32 v21, 2, v17
	v_mul_lo_u16_e32 v17, 7, v21
	v_sub_u16_e32 v22, v8, v17
	v_mov_b32_e32 v17, 3
	v_lshlrev_b32_sdwa v18, v17, v22 dst_sel:DWORD dst_unused:UNUSED_PAD src0_sel:DWORD src1_sel:BYTE_0
	global_load_dwordx2 v[19:20], v18, s[8:9]
	s_movk_i32 s7, 0x54
	v_mov_b32_e32 v18, 2
	s_waitcnt lgkmcnt(0)
	v_lshrrev_b32_e32 v23, 16, v6
	v_lshrrev_b32_e32 v24, 16, v7
	v_mad_u32_u24 v21, v21, s7, 0
	v_lshlrev_b32_sdwa v22, v18, v22 dst_sel:DWORD dst_unused:UNUSED_PAD src0_sel:DWORD src1_sel:BYTE_0
	v_add3_u32 v21, v21, v22, v11
	v_lshrrev_b32_e32 v25, 16, v15
	s_mov_b32 s4, 0xbaee
	s_movk_i32 s6, 0x3aee
	s_waitcnt vmcnt(0)
	s_barrier
	v_mul_f16_sdwa v22, v19, v23 dst_sel:DWORD dst_unused:UNUSED_PAD src0_sel:WORD_1 src1_sel:DWORD
	v_mul_f16_sdwa v26, v19, v6 dst_sel:DWORD dst_unused:UNUSED_PAD src0_sel:WORD_1 src1_sel:DWORD
	;; [unrolled: 1-line block ×4, first 2 shown]
	v_fma_f16 v23, v19, v23, -v26
	v_fma_f16 v6, v19, v6, v22
	v_fma_f16 v7, v20, v7, v27
	v_fma_f16 v19, v20, v24, -v28
	v_add_f16_e32 v20, v6, v15
	v_add_f16_e32 v22, v6, v7
	v_sub_f16_e32 v24, v23, v19
	v_add_f16_e32 v26, v23, v25
	v_add_f16_e32 v23, v23, v19
	v_sub_f16_e32 v6, v6, v7
	v_add_f16_e32 v7, v20, v7
	v_fma_f16 v15, v22, -0.5, v15
	v_fma_f16 v20, v23, -0.5, v25
	v_add_f16_e32 v19, v26, v19
	v_fma_f16 v22, v24, s4, v15
	v_fma_f16 v23, v6, s6, v20
	v_fma_f16 v15, v24, s6, v15
	v_fma_f16 v6, v6, s4, v20
	v_pack_b32_f16 v7, v7, v19
	v_pack_b32_f16 v19, v22, v23
	;; [unrolled: 1-line block ×3, first 2 shown]
	ds_write2_b32 v21, v7, v19 offset1:7
	ds_write_b32 v21, v6 offset:56
	s_and_saveexec_b64 s[4:5], s[0:1]
	s_cbranch_execz .LBB0_18
; %bb.17:
	v_add_u16_e32 v6, 21, v8
	v_mul_lo_u16_sdwa v7, v6, v16 dst_sel:DWORD dst_unused:UNUSED_PAD src0_sel:BYTE_0 src1_sel:DWORD
	v_sub_u16_sdwa v8, v6, v7 dst_sel:DWORD dst_unused:UNUSED_PAD src0_sel:DWORD src1_sel:BYTE_1
	v_lshrrev_b16_e32 v8, 1, v8
	v_and_b32_e32 v8, 0x7f, v8
	v_add_u16_sdwa v7, v8, v7 dst_sel:DWORD dst_unused:UNUSED_PAD src0_sel:DWORD src1_sel:BYTE_1
	v_lshrrev_b16_e32 v8, 2, v7
	v_mul_lo_u16_e32 v7, 7, v8
	v_sub_u16_e32 v15, v6, v7
	v_lshlrev_b32_sdwa v6, v17, v15 dst_sel:DWORD dst_unused:UNUSED_PAD src0_sel:DWORD src1_sel:BYTE_0
	global_load_dwordx2 v[6:7], v6, s[8:9]
	v_mad_u32_u24 v8, v8, s7, 0
	v_lshlrev_b32_sdwa v15, v18, v15 dst_sel:DWORD dst_unused:UNUSED_PAD src0_sel:DWORD src1_sel:BYTE_0
	v_add3_u32 v8, v8, v15, v11
	s_mov_b32 s0, 0xffff
	s_waitcnt vmcnt(0)
	v_pk_mul_f16 v11, v12, v6 op_sel_hi:[0,1]
	v_pk_mul_f16 v12, v13, v7 op_sel_hi:[0,1]
	v_pk_fma_f16 v13, v4, v6, v11 op_sel:[0,0,1] op_sel_hi:[1,1,0]
	v_pk_fma_f16 v4, v4, v6, v11 op_sel:[0,0,1] op_sel_hi:[0,1,0] neg_lo:[1,0,0] neg_hi:[1,0,0]
	v_pk_fma_f16 v6, v14, v7, v12 op_sel:[0,0,1] op_sel_hi:[1,1,0]
	v_pk_fma_f16 v7, v14, v7, v12 op_sel:[0,0,1] op_sel_hi:[0,1,0] neg_lo:[1,0,0] neg_hi:[1,0,0]
	v_bfi_b32 v4, s0, v13, v4
	v_bfi_b32 v6, s0, v6, v7
	v_pk_add_f16 v7, v3, v4
	v_pk_add_f16 v11, v4, v6
	v_pk_add_f16 v4, v4, v6 neg_lo:[0,1] neg_hi:[0,1]
	v_pk_fma_f16 v3, v11, -0.5, v3 op_sel_hi:[1,0,1]
	v_pk_mul_f16 v4, v4, s6 op_sel_hi:[1,0]
	v_pk_add_f16 v6, v7, v6
	v_pk_add_f16 v7, v3, v4 op_sel:[0,1] op_sel_hi:[1,0] neg_lo:[0,1] neg_hi:[0,1]
	v_pk_add_f16 v3, v3, v4 op_sel:[0,1] op_sel_hi:[1,0]
	v_bfi_b32 v4, s0, v7, v3
	v_bfi_b32 v3, s0, v3, v7
	ds_write2_b32 v8, v6, v4 offset1:7
	ds_write_b32 v8, v3 offset:56
.LBB0_18:
	s_or_b64 exec, exec, s[4:5]
	s_waitcnt lgkmcnt(0)
	s_barrier
	s_and_saveexec_b64 s[0:1], vcc
	s_cbranch_execz .LBB0_20
; %bb.19:
	v_mov_b32_e32 v6, 0
	v_lshlrev_b64 v[3:4], 2, v[5:6]
	v_mov_b32_e32 v5, s9
	v_add_co_u32_e32 v3, vcc, s8, v3
	v_addc_co_u32_e32 v4, vcc, v5, v4, vcc
	global_load_dwordx4 v[3:6], v[3:4], off offset:56
	ds_read2_b32 v[7:8], v10 offset0:21 offset1:42
	ds_read2_b32 v[10:11], v10 offset0:63 offset1:84
	ds_read_b32 v14, v9
	ds_read_u16 v9, v9 offset:2
	v_mad_u64_u32 v[12:13], s[0:1], s2, v0, 0
	s_waitcnt lgkmcnt(3)
	v_lshrrev_b32_e32 v15, 16, v7
	v_lshrrev_b32_e32 v16, 16, v8
	s_waitcnt lgkmcnt(2)
	v_lshrrev_b32_e32 v17, 16, v11
	v_lshrrev_b32_e32 v18, 16, v10
	s_movk_i32 s7, 0x3b9c
	s_mov_b32 s4, 0xbb9c
	s_mov_b32 s5, 0xb8b4
	s_movk_i32 s6, 0x34f2
	s_movk_i32 s8, 0x38b4
	v_lshlrev_b64 v[1:2], 2, v[1:2]
	s_waitcnt vmcnt(0)
	v_mul_f16_sdwa v19, v3, v7 dst_sel:DWORD dst_unused:UNUSED_PAD src0_sel:WORD_1 src1_sel:DWORD
	v_mul_f16_sdwa v20, v4, v8 dst_sel:DWORD dst_unused:UNUSED_PAD src0_sel:WORD_1 src1_sel:DWORD
	;; [unrolled: 1-line block ×8, first 2 shown]
	v_fma_f16 v15, v3, v15, -v19
	v_fma_f16 v16, v4, v16, -v20
	;; [unrolled: 1-line block ×4, first 2 shown]
	v_fma_f16 v3, v3, v7, v23
	v_fma_f16 v6, v6, v11, v24
	;; [unrolled: 1-line block ×4, first 2 shown]
	v_sub_f16_e32 v7, v15, v16
	v_sub_f16_e32 v8, v17, v18
	;; [unrolled: 1-line block ×4, first 2 shown]
	v_add_f16_e32 v10, v16, v18
	v_sub_f16_e32 v11, v3, v6
	v_sub_f16_e32 v20, v3, v4
	v_add_f16_e32 v22, v4, v5
	v_add_f16_e32 v27, v15, v17
	;; [unrolled: 1-line block ×3, first 2 shown]
	v_sub_f16_e32 v8, v4, v3
	v_add_f16_e32 v25, v25, v26
	v_add_f16_e32 v26, v3, v6
	s_waitcnt lgkmcnt(1)
	v_add_f16_e32 v3, v3, v14
	v_sub_f16_e32 v19, v4, v5
	v_sub_f16_e32 v21, v6, v5
	v_sub_f16_e32 v23, v15, v17
	v_sub_f16_e32 v24, v16, v18
	s_waitcnt lgkmcnt(0)
	v_add_f16_e32 v15, v15, v9
	v_fma_f16 v10, v10, -0.5, v9
	v_fma_f16 v22, v22, -0.5, v14
	v_fma_f16 v9, v27, -0.5, v9
	v_fma_f16 v14, v26, -0.5, v14
	v_add_f16_e32 v3, v4, v3
	v_add_f16_e32 v20, v20, v21
	v_sub_f16_e32 v21, v5, v6
	v_add_f16_e32 v15, v16, v15
	v_fma_f16 v26, v24, s7, v14
	v_add_f16_e32 v3, v5, v3
	v_fma_f16 v5, v19, s7, v9
	;; [unrolled: 2-line block ×5, first 2 shown]
	v_fma_f16 v16, v23, s7, v22
	v_fma_f16 v21, v19, s4, v9
	;; [unrolled: 1-line block ×3, first 2 shown]
	v_add_f16_e32 v15, v17, v15
	v_fma_f16 v17, v8, s6, v18
	v_fma_f16 v18, v25, s6, v3
	v_mov_b32_e32 v3, v13
	v_fma_f16 v10, v11, s7, v10
	v_fma_f16 v9, v24, s8, v16
	;; [unrolled: 1-line block ×4, first 2 shown]
	v_mad_u64_u32 v[3:4], s[0:1], s3, v0, v[3:4]
	v_fma_f16 v22, v23, s4, v22
	v_fma_f16 v4, v24, s4, v14
	;; [unrolled: 1-line block ×5, first 2 shown]
	v_mov_b32_e32 v13, v3
	v_mov_b32_e32 v3, s13
	v_add_co_u32_e32 v14, vcc, s12, v1
	v_add_u32_e32 v5, 21, v0
	v_fma_f16 v7, v7, s6, v10
	v_fma_f16 v10, v20, s6, v19
	;; [unrolled: 1-line block ×3, first 2 shown]
	v_addc_co_u32_e32 v19, vcc, v3, v2, vcc
	v_mad_u64_u32 v[3:4], s[0:1], s2, v5, 0
	v_lshlrev_b64 v[1:2], 2, v[12:13]
	v_add_u32_e32 v13, 42, v0
	v_mad_u64_u32 v[4:5], s[0:1], s3, v5, v[4:5]
	v_pack_b32_f16 v12, v6, v15
	v_mad_u64_u32 v[5:6], s[0:1], s2, v13, 0
	v_add_co_u32_e32 v1, vcc, v14, v1
	v_addc_co_u32_e32 v2, vcc, v19, v2, vcc
	global_store_dword v[1:2], v12, off
	v_lshlrev_b64 v[1:2], 2, v[3:4]
	v_mov_b32_e32 v3, v6
	v_mad_u64_u32 v[3:4], s[0:1], s3, v13, v[3:4]
	v_add_co_u32_e32 v1, vcc, v14, v1
	v_addc_co_u32_e32 v2, vcc, v19, v2, vcc
	v_pack_b32_f16 v4, v10, v7
	v_mov_b32_e32 v6, v3
	global_store_dword v[1:2], v4, off
	v_lshlrev_b64 v[1:2], 2, v[5:6]
	v_add_u32_e32 v5, 63, v0
	v_mad_u64_u32 v[3:4], s[0:1], s2, v5, 0
	v_add_u32_e32 v10, 0x54, v0
	v_fma_f16 v16, v25, s6, v16
	v_mad_u64_u32 v[4:5], s[0:1], s3, v5, v[4:5]
	v_mad_u64_u32 v[5:6], s[0:1], s2, v10, 0
	v_add_co_u32_e32 v1, vcc, v14, v1
	v_addc_co_u32_e32 v2, vcc, v19, v2, vcc
	v_pack_b32_f16 v7, v17, v16
	global_store_dword v[1:2], v7, off
	v_mov_b32_e32 v2, v6
	v_lshlrev_b64 v[0:1], 2, v[3:4]
	v_mad_u64_u32 v[2:3], s[0:1], s3, v10, v[2:3]
	v_add_co_u32_e32 v0, vcc, v14, v0
	v_addc_co_u32_e32 v1, vcc, v19, v1, vcc
	v_pack_b32_f16 v3, v8, v18
	v_mov_b32_e32 v6, v2
	global_store_dword v[0:1], v3, off
	v_lshlrev_b64 v[0:1], 2, v[5:6]
	v_fma_f16 v9, v20, s6, v9
	v_add_co_u32_e32 v0, vcc, v14, v0
	v_addc_co_u32_e32 v1, vcc, v19, v1, vcc
	v_pack_b32_f16 v2, v9, v11
	global_store_dword v[0:1], v2, off
.LBB0_20:
	s_endpgm
	.section	.rodata,"a",@progbits
	.p2align	6, 0x0
	.amdhsa_kernel fft_rtc_back_len105_factors_7_3_5_wgs_252_tpt_21_half_ip_CI_sbrr_dirReg
		.amdhsa_group_segment_fixed_size 0
		.amdhsa_private_segment_fixed_size 0
		.amdhsa_kernarg_size 88
		.amdhsa_user_sgpr_count 6
		.amdhsa_user_sgpr_private_segment_buffer 1
		.amdhsa_user_sgpr_dispatch_ptr 0
		.amdhsa_user_sgpr_queue_ptr 0
		.amdhsa_user_sgpr_kernarg_segment_ptr 1
		.amdhsa_user_sgpr_dispatch_id 0
		.amdhsa_user_sgpr_flat_scratch_init 0
		.amdhsa_user_sgpr_private_segment_size 0
		.amdhsa_uses_dynamic_stack 0
		.amdhsa_system_sgpr_private_segment_wavefront_offset 0
		.amdhsa_system_sgpr_workgroup_id_x 1
		.amdhsa_system_sgpr_workgroup_id_y 0
		.amdhsa_system_sgpr_workgroup_id_z 0
		.amdhsa_system_sgpr_workgroup_info 0
		.amdhsa_system_vgpr_workitem_id 0
		.amdhsa_next_free_vgpr 29
		.amdhsa_next_free_sgpr 24
		.amdhsa_reserve_vcc 1
		.amdhsa_reserve_flat_scratch 0
		.amdhsa_float_round_mode_32 0
		.amdhsa_float_round_mode_16_64 0
		.amdhsa_float_denorm_mode_32 3
		.amdhsa_float_denorm_mode_16_64 3
		.amdhsa_dx10_clamp 1
		.amdhsa_ieee_mode 1
		.amdhsa_fp16_overflow 0
		.amdhsa_exception_fp_ieee_invalid_op 0
		.amdhsa_exception_fp_denorm_src 0
		.amdhsa_exception_fp_ieee_div_zero 0
		.amdhsa_exception_fp_ieee_overflow 0
		.amdhsa_exception_fp_ieee_underflow 0
		.amdhsa_exception_fp_ieee_inexact 0
		.amdhsa_exception_int_div_zero 0
	.end_amdhsa_kernel
	.text
.Lfunc_end0:
	.size	fft_rtc_back_len105_factors_7_3_5_wgs_252_tpt_21_half_ip_CI_sbrr_dirReg, .Lfunc_end0-fft_rtc_back_len105_factors_7_3_5_wgs_252_tpt_21_half_ip_CI_sbrr_dirReg
                                        ; -- End function
	.section	.AMDGPU.csdata,"",@progbits
; Kernel info:
; codeLenInByte = 3848
; NumSgprs: 28
; NumVgprs: 29
; ScratchSize: 0
; MemoryBound: 0
; FloatMode: 240
; IeeeMode: 1
; LDSByteSize: 0 bytes/workgroup (compile time only)
; SGPRBlocks: 3
; VGPRBlocks: 7
; NumSGPRsForWavesPerEU: 28
; NumVGPRsForWavesPerEU: 29
; Occupancy: 8
; WaveLimiterHint : 1
; COMPUTE_PGM_RSRC2:SCRATCH_EN: 0
; COMPUTE_PGM_RSRC2:USER_SGPR: 6
; COMPUTE_PGM_RSRC2:TRAP_HANDLER: 0
; COMPUTE_PGM_RSRC2:TGID_X_EN: 1
; COMPUTE_PGM_RSRC2:TGID_Y_EN: 0
; COMPUTE_PGM_RSRC2:TGID_Z_EN: 0
; COMPUTE_PGM_RSRC2:TIDIG_COMP_CNT: 0
	.type	__hip_cuid_1ae17d96f8d70cd1,@object ; @__hip_cuid_1ae17d96f8d70cd1
	.section	.bss,"aw",@nobits
	.globl	__hip_cuid_1ae17d96f8d70cd1
__hip_cuid_1ae17d96f8d70cd1:
	.byte	0                               ; 0x0
	.size	__hip_cuid_1ae17d96f8d70cd1, 1

	.ident	"AMD clang version 19.0.0git (https://github.com/RadeonOpenCompute/llvm-project roc-6.4.0 25133 c7fe45cf4b819c5991fe208aaa96edf142730f1d)"
	.section	".note.GNU-stack","",@progbits
	.addrsig
	.addrsig_sym __hip_cuid_1ae17d96f8d70cd1
	.amdgpu_metadata
---
amdhsa.kernels:
  - .args:
      - .actual_access:  read_only
        .address_space:  global
        .offset:         0
        .size:           8
        .value_kind:     global_buffer
      - .offset:         8
        .size:           8
        .value_kind:     by_value
      - .actual_access:  read_only
        .address_space:  global
        .offset:         16
        .size:           8
        .value_kind:     global_buffer
      - .actual_access:  read_only
        .address_space:  global
        .offset:         24
        .size:           8
        .value_kind:     global_buffer
      - .offset:         32
        .size:           8
        .value_kind:     by_value
      - .actual_access:  read_only
        .address_space:  global
        .offset:         40
        .size:           8
        .value_kind:     global_buffer
      - .actual_access:  read_only
        .address_space:  global
        .offset:         48
        .size:           8
        .value_kind:     global_buffer
      - .offset:         56
        .size:           4
        .value_kind:     by_value
      - .actual_access:  read_only
        .address_space:  global
        .offset:         64
        .size:           8
        .value_kind:     global_buffer
      - .actual_access:  read_only
        .address_space:  global
        .offset:         72
        .size:           8
        .value_kind:     global_buffer
      - .address_space:  global
        .offset:         80
        .size:           8
        .value_kind:     global_buffer
    .group_segment_fixed_size: 0
    .kernarg_segment_align: 8
    .kernarg_segment_size: 88
    .language:       OpenCL C
    .language_version:
      - 2
      - 0
    .max_flat_workgroup_size: 252
    .name:           fft_rtc_back_len105_factors_7_3_5_wgs_252_tpt_21_half_ip_CI_sbrr_dirReg
    .private_segment_fixed_size: 0
    .sgpr_count:     28
    .sgpr_spill_count: 0
    .symbol:         fft_rtc_back_len105_factors_7_3_5_wgs_252_tpt_21_half_ip_CI_sbrr_dirReg.kd
    .uniform_work_group_size: 1
    .uses_dynamic_stack: false
    .vgpr_count:     29
    .vgpr_spill_count: 0
    .wavefront_size: 64
amdhsa.target:   amdgcn-amd-amdhsa--gfx906
amdhsa.version:
  - 1
  - 2
...

	.end_amdgpu_metadata
